;; amdgpu-corpus repo=ggml-org/llama.cpp kind=compiled arch=gfx1250 opt=O3
	.amdgcn_target "amdgcn-amd-amdhsa--gfx1250"
	.amdhsa_code_object_version 6
	.section	.text._ZL7pad_f32PKfmmmmPfiiiiiiiiiiiib,"axG",@progbits,_ZL7pad_f32PKfmmmmPfiiiiiiiiiiiib,comdat
	.globl	_ZL7pad_f32PKfmmmmPfiiiiiiiiiiiib ; -- Begin function _ZL7pad_f32PKfmmmmPfiiiiiiiiiiiib
	.p2align	8
	.type	_ZL7pad_f32PKfmmmmPfiiiiiiiiiiiib,@function
_ZL7pad_f32PKfmmmmPfiiiiiiiiiiiib:      ; @_ZL7pad_f32PKfmmmmPfiiiiiiiiiiiib
; %bb.0:
	s_clause 0x1
	s_load_b128 s[20:23], s[0:1], 0x50
	s_load_b32 s4, s[0:1], 0x74
	s_bfe_u32 s3, ttmp6, 0x40014
	s_lshr_b32 s2, ttmp7, 16
	s_add_co_i32 s3, s3, 1
	s_bfe_u32 s5, ttmp6, 0x40008
	s_mul_i32 s3, s2, s3
	s_bfe_u32 s7, ttmp6, 0x40010
	s_add_co_i32 s5, s5, s3
	s_bfe_u32 s11, ttmp6, 0x4000c
	s_and_b32 s6, ttmp7, 0xffff
	s_add_co_i32 s7, s7, 1
	s_add_co_i32 s11, s11, 1
	s_bfe_u32 s8, ttmp6, 0x40004
	s_and_b32 s9, ttmp6, 15
	s_mul_i32 s7, s6, s7
	s_getreg_b32 s12, hwreg(HW_REG_IB_STS2, 6, 4)
	s_add_co_i32 s8, s8, s7
	s_wait_kmcnt 0x0
	s_cvt_f32_u32 s10, s22
	s_and_b32 s4, s4, 0xffff
	s_delay_alu instid0(SALU_CYCLE_2) | instskip(SKIP_1) | instid1(SALU_CYCLE_1)
	v_rcp_iflag_f32_e32 v1, s10
	s_mul_i32 s10, ttmp9, s11
	s_add_co_i32 s9, s9, s10
	s_cmp_eq_u32 s12, 0
	s_cselect_b32 s7, ttmp9, s9
	v_nop
	s_delay_alu instid0(TRANS32_DEP_1)
	v_readfirstlane_b32 s3, v1
	s_cselect_b32 s28, s6, s8
	s_cselect_b32 s29, s2, s5
	s_sub_co_i32 s2, 0, s22
	v_mad_u32 v8, s7, s4, v0
	s_mul_f32 s3, s3, 0x4f7ffffe
	s_delay_alu instid0(SALU_CYCLE_3) | instskip(NEXT) | instid1(SALU_CYCLE_3)
	s_cvt_u32_f32 s3, s3
	s_mul_i32 s2, s2, s3
	s_delay_alu instid0(VALU_DEP_1) | instskip(SKIP_1) | instid1(SALU_CYCLE_1)
	v_cmp_gt_i32_e32 vcc_lo, s20, v8
	s_mul_hi_u32 s2, s3, s2
	s_add_co_i32 s3, s3, s2
	s_delay_alu instid0(SALU_CYCLE_1) | instskip(NEXT) | instid1(SALU_CYCLE_1)
	s_mul_hi_u32 s2, s29, s3
	s_mul_i32 s3, s2, s22
	s_add_co_i32 s5, s2, 1
	s_sub_co_i32 s3, s29, s3
	s_delay_alu instid0(SALU_CYCLE_1)
	s_sub_co_i32 s6, s3, s22
	s_cmp_ge_u32 s3, s22
	s_cselect_b32 s2, s5, s2
	s_cselect_b32 s3, s6, s3
	s_add_co_i32 s4, s2, 1
	s_cmp_ge_u32 s3, s22
	s_cselect_b32 s30, s4, s2
	s_delay_alu instid0(SALU_CYCLE_1) | instskip(NEXT) | instid1(SALU_CYCLE_1)
	s_mul_i32 s2, s30, s22
	s_sub_co_i32 s31, s29, s2
	s_cmp_lt_i32 s28, s21
	s_cselect_b32 s2, -1, 0
	s_delay_alu instid0(SALU_CYCLE_1) | instskip(SKIP_2) | instid1(SALU_CYCLE_1)
	s_and_b32 s2, s2, vcc_lo
	s_cmp_lt_i32 s31, s22
	s_cselect_b32 s3, -1, 0
	s_and_b32 s3, s3, s2
	s_cmp_lt_i32 s30, s23
	s_mov_b32 s2, 0
	s_cselect_b32 s4, -1, 0
	s_delay_alu instid0(SALU_CYCLE_1) | instskip(NEXT) | instid1(SALU_CYCLE_1)
	s_and_b32 s3, s4, s3
	s_and_saveexec_b32 s4, s3
	s_cbranch_execz .LBB0_23
; %bb.1:
	s_clause 0x3
	s_load_b32 s3, s[0:1], 0x60
	s_load_b256 s[12:19], s[0:1], 0x30
	s_load_b256 s[4:11], s[0:1], 0x0
	s_load_b128 s[24:27], s[0:1], 0x20
	s_wait_kmcnt 0x0
	s_bitcmp1_b32 s3, 0
	s_cselect_b32 s0, -1, 0
	s_delay_alu instid0(SALU_CYCLE_1)
	s_and_b32 vcc_lo, exec_lo, s0
	s_cbranch_vccnz .LBB0_5
; %bb.2:
	v_cmp_le_i32_e32 vcc_lo, s12, v8
	s_sub_co_i32 s0, s20, s13
	s_cmp_ge_i32 s28, s14
	v_cmp_gt_i32_e64 s0, s0, v8
	s_cselect_b32 s1, -1, 0
	s_sub_co_i32 s2, s21, s15
	s_and_b32 s1, vcc_lo, s1
                                        ; implicit-def: $vgpr0_vgpr1
                                        ; implicit-def: $vgpr2_vgpr3
                                        ; implicit-def: $vgpr4_vgpr5
                                        ; implicit-def: $vgpr6_vgpr7
	s_delay_alu instid0(SALU_CYCLE_1) | instskip(SKIP_2) | instid1(SALU_CYCLE_1)
	s_and_b32 s0, s1, s0
	s_cmp_lt_i32 s28, s2
	s_cselect_b32 s1, -1, 0
	s_and_b32 s0, s0, s1
	s_cmp_ge_i32 s31, s16
	s_cselect_b32 s1, -1, 0
	s_sub_co_i32 s2, s22, s17
	s_and_b32 s0, s1, s0
	s_cmp_lt_i32 s31, s2
	s_cselect_b32 s1, -1, 0
	s_delay_alu instid0(SALU_CYCLE_1)
	s_and_b32 s0, s0, s1
	s_cmp_ge_i32 s30, s18
	s_cselect_b32 s1, -1, 0
	s_sub_co_i32 s2, s23, s19
	s_and_b32 s1, s1, s0
	s_cmp_lt_i32 s30, s2
	s_mov_b32 s0, 0
	s_cselect_b32 s2, -1, 0
	s_delay_alu instid0(SALU_CYCLE_1)
	s_and_b32 s3, s1, s2
	s_mov_b32 s2, 0
	s_and_saveexec_b32 s1, s3
	s_cbranch_execz .LBB0_4
; %bb.3:
	v_subrev_nc_u32_e32 v0, s12, v8
	s_sub_co_i32 s34, s28, s14
	s_mov_b32 s37, 0
	s_ashr_i32 s35, s34, 31
	s_sub_co_i32 s38, s30, s18
	v_ashrrev_i32_e32 v1, 31, v0
	s_mov_b32 s39, s37
	s_sub_co_i32 s36, s31, s16
	s_mul_u64 s[38:39], s[24:25], s[38:39]
	s_mul_u64 s[36:37], s[10:11], s[36:37]
	v_mul_u64_e32 v[0:1], s[6:7], v[0:1]
	s_mul_u64 s[34:35], s[8:9], s[34:35]
	v_mov_b64_e32 v[6:7], s[38:39]
	v_mov_b64_e32 v[4:5], s[36:37]
	;; [unrolled: 1-line block ×3, first 2 shown]
	s_mov_b32 s2, exec_lo
.LBB0_4:
	s_or_b32 exec_lo, exec_lo, s1
	s_delay_alu instid0(SALU_CYCLE_1)
	s_and_b32 vcc_lo, exec_lo, s0
	s_cbranch_vccnz .LBB0_6
	s_branch .LBB0_20
.LBB0_5:
                                        ; implicit-def: $vgpr0_vgpr1
                                        ; implicit-def: $vgpr2_vgpr3
                                        ; implicit-def: $vgpr4_vgpr5
                                        ; implicit-def: $vgpr6_vgpr7
	s_cbranch_execz .LBB0_20
.LBB0_6:
	v_subrev_nc_u32_e32 v0, s12, v8
	s_add_co_i32 s0, s13, s12
	v_mov_b32_e32 v2, 0
	s_sub_co_i32 s2, s20, s0
	s_mov_b32 s0, exec_lo
	s_ashr_i32 s3, s2, 31
	v_ashrrev_i32_e32 v1, 31, v0
	s_delay_alu instid0(VALU_DEP_1) | instskip(NEXT) | instid1(VALU_DEP_1)
	v_add_nc_u64_e32 v[4:5], s[2:3], v[0:1]
                                        ; implicit-def: $vgpr0_vgpr1
	v_or_b32_e32 v3, s3, v5
	s_delay_alu instid0(VALU_DEP_1)
	v_cmpx_ne_u64_e32 0, v[2:3]
	s_xor_b32 s1, exec_lo, s0
	s_cbranch_execz .LBB0_8
; %bb.7:
	s_ashr_i32 s12, s3, 31
	s_mov_b32 s41, 0
	s_mov_b32 s13, s12
	v_dual_mov_b32 v7, v2 :: v_dual_ashrrev_i32 v0, 31, v5
	s_add_nc_u64 s[34:35], s[2:3], s[12:13]
	v_mov_b32_e32 v11, v2
	s_xor_b64 s[12:13], s[34:35], s[12:13]
	s_delay_alu instid0(VALU_DEP_2)
	v_mov_b32_e32 v1, v0
	s_cvt_f32_u32 s0, s12
	s_cvt_f32_u32 s3, s13
	s_sub_nc_u64 s[36:37], 0, s[12:13]
	v_mov_b32_e32 v17, v2
	v_add_nc_u64_e32 v[4:5], v[4:5], v[0:1]
	s_fmamk_f32 s0, s3, 0x4f800000, s0
	v_mov_b32_e32 v3, v2
	s_delay_alu instid0(SALU_CYCLE_2) | instskip(NEXT) | instid1(VALU_DEP_2)
	v_s_rcp_f32 s0, s0
	v_xor_b32_e32 v6, v4, v0
	s_delay_alu instid0(VALU_DEP_3) | instskip(NEXT) | instid1(TRANS32_DEP_1)
	v_xor_b32_e32 v10, v5, v0
	s_mul_f32 s0, s0, 0x5f7ffffc
	s_delay_alu instid0(SALU_CYCLE_3) | instskip(NEXT) | instid1(SALU_CYCLE_3)
	s_mul_f32 s3, s0, 0x2f800000
	s_trunc_f32 s3, s3
	s_delay_alu instid0(SALU_CYCLE_3) | instskip(SKIP_1) | instid1(SALU_CYCLE_2)
	s_fmamk_f32 s0, s3, 0xcf800000, s0
	s_cvt_u32_f32 s35, s3
	s_cvt_u32_f32 s34, s0
	s_delay_alu instid0(SALU_CYCLE_3) | instskip(NEXT) | instid1(SALU_CYCLE_1)
	s_mul_u64 s[38:39], s[36:37], s[34:35]
	s_mul_hi_u32 s43, s34, s39
	s_mul_i32 s42, s34, s39
	s_mul_hi_u32 s40, s34, s38
	s_mul_i32 s3, s35, s38
	s_add_nc_u64 s[42:43], s[40:41], s[42:43]
	s_mul_hi_u32 s0, s35, s38
	s_mul_hi_u32 s33, s35, s39
	s_add_co_u32 s3, s42, s3
	s_add_co_ci_u32 s40, s43, s0
	s_mul_i32 s38, s35, s39
	s_add_co_ci_u32 s39, s33, 0
	s_delay_alu instid0(SALU_CYCLE_1) | instskip(NEXT) | instid1(SALU_CYCLE_1)
	s_add_nc_u64 s[38:39], s[40:41], s[38:39]
	s_add_co_u32 s34, s34, s38
	s_cselect_b32 s0, -1, 0
	s_delay_alu instid0(SALU_CYCLE_1) | instskip(SKIP_1) | instid1(SALU_CYCLE_1)
	s_cmp_lg_u32 s0, 0
	s_add_co_ci_u32 s35, s35, s39
	s_mul_u64 s[36:37], s[36:37], s[34:35]
	s_delay_alu instid0(SALU_CYCLE_1)
	s_mul_hi_u32 s39, s34, s37
	s_mul_i32 s38, s34, s37
	s_mul_hi_u32 s40, s34, s36
	s_mul_i32 s3, s35, s36
	s_add_nc_u64 s[38:39], s[40:41], s[38:39]
	s_mul_hi_u32 s0, s35, s36
	s_mul_hi_u32 s33, s35, s37
	s_add_co_u32 s3, s38, s3
	s_add_co_ci_u32 s40, s39, s0
	s_mul_i32 s36, s35, s37
	s_add_co_ci_u32 s37, s33, 0
	s_delay_alu instid0(SALU_CYCLE_1) | instskip(NEXT) | instid1(SALU_CYCLE_1)
	s_add_nc_u64 s[36:37], s[40:41], s[36:37]
	s_add_co_u32 s0, s34, s36
	s_cselect_b32 s3, -1, 0
	v_mul_hi_u32 v16, v6, s0
	s_cmp_lg_u32 s3, 0
	s_add_co_ci_u32 s40, s35, s37
	s_mov_b64 s[34:35], 0xffffffff
	v_mul_u64_e32 v[12:13], s[40:41], v[6:7]
	s_and_b64 s[34:35], s[0:1], s[34:35]
	v_mul_u64_e32 v[14:15], s[40:41], v[10:11]
	v_mul_u64_e32 v[4:5], s[34:35], v[10:11]
	s_delay_alu instid0(VALU_DEP_3) | instskip(NEXT) | instid1(VALU_DEP_1)
	v_add_nc_u64_e32 v[12:13], v[16:17], v[12:13]
	v_add_co_u32 v2, vcc_lo, v12, v4
	s_delay_alu instid0(VALU_DEP_2) | instskip(SKIP_1) | instid1(VALU_DEP_1)
	v_add_co_ci_u32_e32 v2, vcc_lo, v13, v5, vcc_lo
	v_add_co_ci_u32_e32 v15, vcc_lo, 0, v15, vcc_lo
	v_add_nc_u64_e32 v[2:3], v[2:3], v[14:15]
	s_delay_alu instid0(VALU_DEP_1) | instskip(NEXT) | instid1(VALU_DEP_1)
	v_mul_u64_e32 v[2:3], s[12:13], v[2:3]
	v_sub_nc_u32_e32 v4, v10, v3
	s_delay_alu instid0(VALU_DEP_2) | instskip(NEXT) | instid1(VALU_DEP_1)
	v_sub_co_u32 v2, vcc_lo, v6, v2
	v_sub_co_ci_u32_e64 v3, null, v10, v3, vcc_lo
	s_delay_alu instid0(VALU_DEP_3) | instskip(NEXT) | instid1(VALU_DEP_3)
	v_subrev_co_ci_u32_e64 v4, null, s13, v4, vcc_lo
	v_sub_co_u32 v5, vcc_lo, v2, s12
	v_cmp_le_u32_e64 s0, s12, v2
	s_delay_alu instid0(VALU_DEP_3) | instskip(SKIP_1) | instid1(VALU_DEP_3)
	v_subrev_co_ci_u32_e64 v6, null, 0, v4, vcc_lo
	v_subrev_co_ci_u32_e64 v4, null, s13, v4, vcc_lo
	v_cndmask_b32_e64 v7, 0, -1, s0
	v_cmp_le_u32_e64 s0, s12, v5
	v_cmp_le_u32_e32 vcc_lo, s13, v3
	s_delay_alu instid0(VALU_DEP_2) | instskip(SKIP_3) | instid1(VALU_DEP_3)
	v_cndmask_b32_e64 v9, 0, -1, s0
	v_cmp_le_u32_e64 s0, s13, v6
	v_cndmask_b32_e64 v11, 0, -1, vcc_lo
	v_cmp_eq_u32_e32 vcc_lo, s13, v6
	v_cndmask_b32_e64 v10, 0, -1, s0
	v_cmp_eq_u32_e64 s0, s13, v3
	s_delay_alu instid0(VALU_DEP_2) | instskip(SKIP_1) | instid1(VALU_DEP_1)
	v_cndmask_b32_e32 v9, v10, v9, vcc_lo
	v_sub_co_u32 v10, vcc_lo, v5, s12
	v_subrev_co_ci_u32_e64 v4, null, 0, v4, vcc_lo
	s_delay_alu instid0(VALU_DEP_3) | instskip(NEXT) | instid1(VALU_DEP_2)
	v_cmp_ne_u32_e32 vcc_lo, 0, v9
	v_dual_cndmask_b32 v7, v11, v7, s0 :: v_dual_cndmask_b32 v4, v6, v4, vcc_lo
	s_delay_alu instid0(VALU_DEP_4) | instskip(NEXT) | instid1(VALU_DEP_2)
	v_cndmask_b32_e32 v5, v5, v10, vcc_lo
	v_cmp_ne_u32_e32 vcc_lo, 0, v7
	s_delay_alu instid0(VALU_DEP_2) | instskip(NEXT) | instid1(VALU_DEP_1)
	v_dual_cndmask_b32 v3, v3, v4 :: v_dual_cndmask_b32 v2, v2, v5
                                        ; implicit-def: $vgpr4_vgpr5
	v_xor_b32_e32 v3, v3, v0
	s_delay_alu instid0(VALU_DEP_2) | instskip(NEXT) | instid1(VALU_DEP_1)
	v_xor_b32_e32 v2, v2, v0
	v_sub_nc_u64_e32 v[0:1], v[2:3], v[0:1]
.LBB0_8:
	s_and_not1_saveexec_b32 s0, s1
	s_cbranch_execz .LBB0_10
; %bb.9:
	v_cvt_f32_u32_e32 v0, s2
	s_sub_co_i32 s1, 0, s2
	s_delay_alu instid0(VALU_DEP_1) | instskip(SKIP_1) | instid1(TRANS32_DEP_1)
	v_rcp_iflag_f32_e32 v0, v0
	v_nop
	v_mul_f32_e32 v0, 0x4f7ffffe, v0
	s_delay_alu instid0(VALU_DEP_1) | instskip(NEXT) | instid1(VALU_DEP_1)
	v_cvt_u32_f32_e32 v0, v0
	v_mul_lo_u32 v1, s1, v0
	s_delay_alu instid0(VALU_DEP_1) | instskip(NEXT) | instid1(VALU_DEP_1)
	v_mul_hi_u32 v1, v0, v1
	v_add_nc_u32_e32 v0, v0, v1
	s_delay_alu instid0(VALU_DEP_1) | instskip(NEXT) | instid1(VALU_DEP_1)
	v_mul_hi_u32 v0, v4, v0
	v_mul_lo_u32 v0, v0, s2
	s_delay_alu instid0(VALU_DEP_1) | instskip(NEXT) | instid1(VALU_DEP_1)
	v_sub_nc_u32_e32 v0, v4, v0
	v_subrev_nc_u32_e32 v1, s2, v0
	v_cmp_le_u32_e32 vcc_lo, s2, v0
	s_delay_alu instid0(VALU_DEP_2) | instskip(NEXT) | instid1(VALU_DEP_1)
	v_cndmask_b32_e32 v0, v0, v1, vcc_lo
	v_subrev_nc_u32_e32 v1, s2, v0
	v_cmp_le_u32_e32 vcc_lo, s2, v0
	s_delay_alu instid0(VALU_DEP_2)
	v_dual_cndmask_b32 v0, v0, v1 :: v_dual_mov_b32 v1, 0
.LBB0_10:
	s_or_b32 exec_lo, exec_lo, s0
	s_add_co_i32 s0, s15, s14
	s_delay_alu instid0(SALU_CYCLE_1) | instskip(SKIP_3) | instid1(SALU_CYCLE_1)
	s_sub_co_i32 s2, s21, s0
	s_sub_co_i32 s0, s28, s14
	s_ashr_i32 s3, s2, 31
	s_ashr_i32 s1, s0, 31
	s_add_nc_u64 s[12:13], s[2:3], s[0:1]
	s_delay_alu instid0(SALU_CYCLE_1) | instskip(NEXT) | instid1(SALU_CYCLE_1)
	s_or_b64 s[0:1], s[12:13], s[2:3]
	s_and_b64 s[0:1], s[0:1], 0xffffffff00000000
	s_delay_alu instid0(SALU_CYCLE_1)
	s_cmp_lg_u64 s[0:1], 0
	s_cbranch_scc0 .LBB0_24
; %bb.11:
	s_ashr_i32 s0, s3, 31
	s_delay_alu instid0(SALU_CYCLE_1) | instskip(NEXT) | instid1(SALU_CYCLE_1)
	s_mov_b32 s1, s0
	s_add_nc_u64 s[14:15], s[2:3], s[0:1]
	s_delay_alu instid0(SALU_CYCLE_1) | instskip(SKIP_4) | instid1(SALU_CYCLE_2)
	s_xor_b64 s[0:1], s[14:15], s[0:1]
	s_mov_b32 s15, 0
	s_cvt_f32_u32 s3, s0
	s_cvt_f32_u32 s14, s1
	s_sub_nc_u64 s[36:37], 0, s[0:1]
	s_fmamk_f32 s3, s14, 0x4f800000, s3
	s_delay_alu instid0(SALU_CYCLE_3) | instskip(NEXT) | instid1(TRANS32_DEP_1)
	v_s_rcp_f32 s3, s3
	s_mul_f32 s3, s3, 0x5f7ffffc
	s_delay_alu instid0(SALU_CYCLE_3) | instskip(NEXT) | instid1(SALU_CYCLE_3)
	s_mul_f32 s14, s3, 0x2f800000
	s_trunc_f32 s14, s14
	s_delay_alu instid0(SALU_CYCLE_3) | instskip(SKIP_1) | instid1(SALU_CYCLE_2)
	s_fmamk_f32 s3, s14, 0xcf800000, s3
	s_cvt_u32_f32 s35, s14
	s_cvt_u32_f32 s34, s3
	s_delay_alu instid0(SALU_CYCLE_3) | instskip(NEXT) | instid1(SALU_CYCLE_1)
	s_mul_u64 s[38:39], s[36:37], s[34:35]
	s_mul_hi_u32 s41, s34, s39
	s_mul_i32 s40, s34, s39
	s_mul_hi_u32 s14, s34, s38
	s_mul_i32 s33, s35, s38
	s_add_nc_u64 s[40:41], s[14:15], s[40:41]
	s_mul_hi_u32 s3, s35, s38
	s_mul_hi_u32 s42, s35, s39
	s_add_co_u32 s14, s40, s33
	s_add_co_ci_u32 s14, s41, s3
	s_mul_i32 s38, s35, s39
	s_add_co_ci_u32 s39, s42, 0
	s_delay_alu instid0(SALU_CYCLE_1) | instskip(NEXT) | instid1(SALU_CYCLE_1)
	s_add_nc_u64 s[38:39], s[14:15], s[38:39]
	s_add_co_u32 s34, s34, s38
	s_cselect_b32 s3, -1, 0
	s_delay_alu instid0(SALU_CYCLE_1) | instskip(SKIP_1) | instid1(SALU_CYCLE_1)
	s_cmp_lg_u32 s3, 0
	s_add_co_ci_u32 s35, s35, s39
	s_mul_u64 s[36:37], s[36:37], s[34:35]
	s_delay_alu instid0(SALU_CYCLE_1)
	s_mul_hi_u32 s39, s34, s37
	s_mul_i32 s38, s34, s37
	s_mul_hi_u32 s14, s34, s36
	s_mul_i32 s33, s35, s36
	s_add_nc_u64 s[38:39], s[14:15], s[38:39]
	s_mul_hi_u32 s3, s35, s36
	s_mul_hi_u32 s40, s35, s37
	s_add_co_u32 s14, s38, s33
	s_add_co_ci_u32 s14, s39, s3
	s_mul_i32 s36, s35, s37
	s_add_co_ci_u32 s37, s40, 0
	s_delay_alu instid0(SALU_CYCLE_1) | instskip(NEXT) | instid1(SALU_CYCLE_1)
	s_add_nc_u64 s[36:37], s[14:15], s[36:37]
	s_add_co_u32 s3, s34, s36
	s_cselect_b32 s14, -1, 0
	s_delay_alu instid0(SALU_CYCLE_1) | instskip(SKIP_2) | instid1(SALU_CYCLE_1)
	s_cmp_lg_u32 s14, 0
	s_add_co_ci_u32 s33, s35, s37
	s_ashr_i32 s34, s13, 31
	s_mov_b32 s35, s34
	s_delay_alu instid0(SALU_CYCLE_1) | instskip(NEXT) | instid1(SALU_CYCLE_1)
	s_add_nc_u64 s[36:37], s[12:13], s[34:35]
	s_xor_b64 s[36:37], s[36:37], s[34:35]
	s_delay_alu instid0(SALU_CYCLE_1)
	s_mul_hi_u32 s39, s36, s33
	s_mul_i32 s38, s36, s33
	s_mul_hi_u32 s14, s36, s3
	s_mul_hi_u32 s41, s37, s3
	s_mul_i32 s3, s37, s3
	s_add_nc_u64 s[38:39], s[14:15], s[38:39]
	s_mul_hi_u32 s13, s37, s33
	s_add_co_u32 s3, s38, s3
	s_add_co_ci_u32 s14, s39, s41
	s_mul_i32 s40, s37, s33
	s_add_co_ci_u32 s41, s13, 0
	s_delay_alu instid0(SALU_CYCLE_1) | instskip(NEXT) | instid1(SALU_CYCLE_1)
	s_add_nc_u64 s[38:39], s[14:15], s[40:41]
	s_and_b64 s[40:41], s[38:39], 0xffffffff00000000
	s_delay_alu instid0(SALU_CYCLE_1) | instskip(NEXT) | instid1(SALU_CYCLE_1)
	s_or_b32 s40, s40, s38
	s_mul_u64 s[38:39], s[0:1], s[40:41]
	s_delay_alu instid0(SALU_CYCLE_1)
	s_sub_co_u32 s3, s36, s38
	s_cselect_b32 s13, -1, 0
	s_sub_co_i32 s14, s37, s39
	s_cmp_lg_u32 s13, 0
	s_sub_co_ci_u32 s14, s14, s1
	s_sub_co_u32 s33, s3, s0
	s_cselect_b32 s36, -1, 0
	s_delay_alu instid0(SALU_CYCLE_1) | instskip(SKIP_1) | instid1(SALU_CYCLE_1)
	s_cmp_lg_u32 s36, 0
	s_sub_co_ci_u32 s38, s14, 0
	s_cmp_ge_u32 s38, s1
	s_cselect_b32 s40, -1, 0
	s_cmp_ge_u32 s33, s0
	s_cselect_b32 s41, -1, 0
	s_cmp_eq_u32 s38, s1
	s_cselect_b32 s40, s41, s40
	s_cmp_lg_u32 s36, 0
	s_sub_co_ci_u32 s14, s14, s1
	s_sub_co_u32 s36, s33, s0
	s_cselect_b32 s41, -1, 0
	s_delay_alu instid0(SALU_CYCLE_1)
	s_cmp_lg_u32 s41, 0
	s_sub_co_ci_u32 s14, s14, 0
	s_cmp_lg_u32 s40, 0
	s_cselect_b32 s33, s36, s33
	s_cselect_b32 s14, s14, s38
	s_cmp_lg_u32 s13, 0
	s_sub_co_ci_u32 s13, s37, s39
	s_delay_alu instid0(SALU_CYCLE_1)
	s_cmp_ge_u32 s13, s1
	s_cselect_b32 s36, -1, 0
	s_cmp_ge_u32 s3, s0
	s_cselect_b32 s0, -1, 0
	s_cmp_eq_u32 s13, s1
	s_cselect_b32 s0, s0, s36
	s_delay_alu instid0(SALU_CYCLE_1) | instskip(SKIP_2) | instid1(SALU_CYCLE_1)
	s_cmp_lg_u32 s0, 0
	s_cselect_b32 s1, s14, s13
	s_cselect_b32 s0, s33, s3
	s_xor_b64 s[0:1], s[0:1], s[34:35]
	s_delay_alu instid0(SALU_CYCLE_1)
	s_sub_nc_u64 s[0:1], s[0:1], s[34:35]
	s_cbranch_execnz .LBB0_13
.LBB0_12:
	v_cvt_f32_u32_e32 v2, s2
	s_sub_co_i32 s1, 0, s2
	s_delay_alu instid0(VALU_DEP_1) | instskip(SKIP_1) | instid1(TRANS32_DEP_1)
	v_rcp_iflag_f32_e32 v2, v2
	v_nop
	v_mul_f32_e32 v2, 0x4f7ffffe, v2
	s_delay_alu instid0(VALU_DEP_1) | instskip(NEXT) | instid1(VALU_DEP_1)
	v_cvt_u32_f32_e32 v2, v2
	v_readfirstlane_b32 s0, v2
	s_mul_i32 s1, s1, s0
	s_delay_alu instid0(SALU_CYCLE_1) | instskip(NEXT) | instid1(SALU_CYCLE_1)
	s_mul_hi_u32 s1, s0, s1
	s_add_co_i32 s0, s0, s1
	s_delay_alu instid0(SALU_CYCLE_1) | instskip(NEXT) | instid1(SALU_CYCLE_1)
	s_mul_hi_u32 s0, s12, s0
	s_mul_i32 s0, s0, s2
	s_delay_alu instid0(SALU_CYCLE_1) | instskip(NEXT) | instid1(SALU_CYCLE_1)
	s_sub_co_i32 s0, s12, s0
	s_sub_co_i32 s1, s0, s2
	s_cmp_ge_u32 s0, s2
	s_cselect_b32 s0, s1, s0
	s_mov_b32 s1, 0
	s_sub_co_i32 s3, s0, s2
	s_cmp_ge_u32 s0, s2
	s_cselect_b32 s0, s3, s0
.LBB0_13:
	s_add_co_i32 s2, s17, s16
	s_delay_alu instid0(SALU_CYCLE_1) | instskip(SKIP_3) | instid1(SALU_CYCLE_1)
	s_sub_co_i32 s12, s22, s2
	s_sub_co_i32 s2, s31, s16
	s_ashr_i32 s13, s12, 31
	s_ashr_i32 s3, s2, 31
	s_add_nc_u64 s[14:15], s[2:3], s[12:13]
	s_delay_alu instid0(SALU_CYCLE_1) | instskip(NEXT) | instid1(SALU_CYCLE_1)
	s_or_b64 s[2:3], s[14:15], s[12:13]
	s_and_b64 s[2:3], s[2:3], 0xffffffff00000000
	s_delay_alu instid0(SALU_CYCLE_1)
	s_cmp_lg_u64 s[2:3], 0
	s_cbranch_scc0 .LBB0_25
; %bb.14:
	s_ashr_i32 s2, s13, 31
	s_delay_alu instid0(SALU_CYCLE_1) | instskip(NEXT) | instid1(SALU_CYCLE_1)
	s_mov_b32 s3, s2
	s_add_nc_u64 s[16:17], s[12:13], s[2:3]
	s_delay_alu instid0(SALU_CYCLE_1) | instskip(SKIP_4) | instid1(SALU_CYCLE_2)
	s_xor_b64 s[2:3], s[16:17], s[2:3]
	s_mov_b32 s17, 0
	s_cvt_f32_u32 s13, s2
	s_cvt_f32_u32 s16, s3
	s_sub_nc_u64 s[36:37], 0, s[2:3]
	s_fmamk_f32 s13, s16, 0x4f800000, s13
	s_delay_alu instid0(SALU_CYCLE_3) | instskip(NEXT) | instid1(TRANS32_DEP_1)
	v_s_rcp_f32 s13, s13
	s_mul_f32 s13, s13, 0x5f7ffffc
	s_delay_alu instid0(SALU_CYCLE_3) | instskip(NEXT) | instid1(SALU_CYCLE_3)
	s_mul_f32 s16, s13, 0x2f800000
	s_trunc_f32 s16, s16
	s_delay_alu instid0(SALU_CYCLE_3) | instskip(SKIP_1) | instid1(SALU_CYCLE_2)
	s_fmamk_f32 s13, s16, 0xcf800000, s13
	s_cvt_u32_f32 s35, s16
	s_cvt_u32_f32 s34, s13
	s_delay_alu instid0(SALU_CYCLE_3) | instskip(NEXT) | instid1(SALU_CYCLE_1)
	s_mul_u64 s[38:39], s[36:37], s[34:35]
	s_mul_hi_u32 s41, s34, s39
	s_mul_i32 s40, s34, s39
	s_mul_hi_u32 s16, s34, s38
	s_mul_i32 s22, s35, s38
	s_add_nc_u64 s[40:41], s[16:17], s[40:41]
	s_mul_hi_u32 s13, s35, s38
	s_mul_hi_u32 s31, s35, s39
	s_add_co_u32 s16, s40, s22
	s_add_co_ci_u32 s16, s41, s13
	s_mul_i32 s38, s35, s39
	s_add_co_ci_u32 s39, s31, 0
	s_delay_alu instid0(SALU_CYCLE_1) | instskip(NEXT) | instid1(SALU_CYCLE_1)
	s_add_nc_u64 s[38:39], s[16:17], s[38:39]
	s_add_co_u32 s34, s34, s38
	s_cselect_b32 s13, -1, 0
	s_delay_alu instid0(SALU_CYCLE_1) | instskip(SKIP_1) | instid1(SALU_CYCLE_1)
	s_cmp_lg_u32 s13, 0
	s_add_co_ci_u32 s35, s35, s39
	s_mul_u64 s[36:37], s[36:37], s[34:35]
	s_delay_alu instid0(SALU_CYCLE_1)
	s_mul_hi_u32 s39, s34, s37
	s_mul_i32 s38, s34, s37
	s_mul_hi_u32 s16, s34, s36
	s_mul_i32 s22, s35, s36
	s_add_nc_u64 s[38:39], s[16:17], s[38:39]
	s_mul_hi_u32 s13, s35, s36
	s_mul_hi_u32 s31, s35, s37
	s_add_co_u32 s16, s38, s22
	s_add_co_ci_u32 s16, s39, s13
	s_mul_i32 s36, s35, s37
	s_add_co_ci_u32 s37, s31, 0
	s_delay_alu instid0(SALU_CYCLE_1) | instskip(NEXT) | instid1(SALU_CYCLE_1)
	s_add_nc_u64 s[36:37], s[16:17], s[36:37]
	s_add_co_u32 s13, s34, s36
	s_cselect_b32 s16, -1, 0
	s_delay_alu instid0(SALU_CYCLE_1) | instskip(SKIP_2) | instid1(SALU_CYCLE_1)
	s_cmp_lg_u32 s16, 0
	s_add_co_ci_u32 s22, s35, s37
	s_ashr_i32 s34, s15, 31
	s_mov_b32 s35, s34
	s_delay_alu instid0(SALU_CYCLE_1) | instskip(NEXT) | instid1(SALU_CYCLE_1)
	s_add_nc_u64 s[36:37], s[14:15], s[34:35]
	s_xor_b64 s[36:37], s[36:37], s[34:35]
	s_delay_alu instid0(SALU_CYCLE_1)
	s_mul_hi_u32 s39, s36, s22
	s_mul_i32 s38, s36, s22
	s_mul_hi_u32 s16, s36, s13
	s_mul_hi_u32 s31, s37, s13
	s_mul_i32 s13, s37, s13
	s_add_nc_u64 s[38:39], s[16:17], s[38:39]
	s_mul_hi_u32 s15, s37, s22
	s_add_co_u32 s13, s38, s13
	s_add_co_ci_u32 s16, s39, s31
	s_mul_i32 s40, s37, s22
	s_add_co_ci_u32 s41, s15, 0
	s_delay_alu instid0(SALU_CYCLE_1) | instskip(NEXT) | instid1(SALU_CYCLE_1)
	s_add_nc_u64 s[38:39], s[16:17], s[40:41]
	s_and_b64 s[40:41], s[38:39], 0xffffffff00000000
	s_delay_alu instid0(SALU_CYCLE_1) | instskip(NEXT) | instid1(SALU_CYCLE_1)
	s_or_b32 s40, s40, s38
	s_mul_u64 s[38:39], s[2:3], s[40:41]
	s_delay_alu instid0(SALU_CYCLE_1)
	s_sub_co_u32 s13, s36, s38
	s_cselect_b32 s15, -1, 0
	s_sub_co_i32 s16, s37, s39
	s_cmp_lg_u32 s15, 0
	s_sub_co_ci_u32 s16, s16, s3
	s_sub_co_u32 s22, s13, s2
	s_cselect_b32 s31, -1, 0
	s_delay_alu instid0(SALU_CYCLE_1) | instskip(SKIP_1) | instid1(SALU_CYCLE_1)
	s_cmp_lg_u32 s31, 0
	s_sub_co_ci_u32 s33, s16, 0
	s_cmp_ge_u32 s33, s3
	s_cselect_b32 s36, -1, 0
	s_cmp_ge_u32 s22, s2
	s_cselect_b32 s38, -1, 0
	s_cmp_eq_u32 s33, s3
	s_cselect_b32 s36, s38, s36
	s_cmp_lg_u32 s31, 0
	s_sub_co_ci_u32 s16, s16, s3
	s_sub_co_u32 s31, s22, s2
	s_cselect_b32 s38, -1, 0
	s_delay_alu instid0(SALU_CYCLE_1)
	s_cmp_lg_u32 s38, 0
	s_sub_co_ci_u32 s16, s16, 0
	s_cmp_lg_u32 s36, 0
	s_cselect_b32 s22, s31, s22
	s_cselect_b32 s16, s16, s33
	s_cmp_lg_u32 s15, 0
	s_sub_co_ci_u32 s15, s37, s39
	s_delay_alu instid0(SALU_CYCLE_1)
	s_cmp_ge_u32 s15, s3
	s_cselect_b32 s31, -1, 0
	s_cmp_ge_u32 s13, s2
	s_cselect_b32 s2, -1, 0
	s_cmp_eq_u32 s15, s3
	s_cselect_b32 s2, s2, s31
	s_delay_alu instid0(SALU_CYCLE_1) | instskip(SKIP_2) | instid1(SALU_CYCLE_1)
	s_cmp_lg_u32 s2, 0
	s_cselect_b32 s3, s16, s15
	s_cselect_b32 s2, s22, s13
	s_xor_b64 s[2:3], s[2:3], s[34:35]
	s_delay_alu instid0(SALU_CYCLE_1)
	s_sub_nc_u64 s[2:3], s[2:3], s[34:35]
	s_cbranch_execnz .LBB0_16
.LBB0_15:
	v_cvt_f32_u32_e32 v2, s12
	s_sub_co_i32 s3, 0, s12
	s_delay_alu instid0(VALU_DEP_1) | instskip(SKIP_1) | instid1(TRANS32_DEP_1)
	v_rcp_iflag_f32_e32 v2, v2
	v_nop
	v_mul_f32_e32 v2, 0x4f7ffffe, v2
	s_delay_alu instid0(VALU_DEP_1) | instskip(NEXT) | instid1(VALU_DEP_1)
	v_cvt_u32_f32_e32 v2, v2
	v_readfirstlane_b32 s2, v2
	s_mul_i32 s3, s3, s2
	s_delay_alu instid0(SALU_CYCLE_1) | instskip(NEXT) | instid1(SALU_CYCLE_1)
	s_mul_hi_u32 s3, s2, s3
	s_add_co_i32 s2, s2, s3
	s_delay_alu instid0(SALU_CYCLE_1) | instskip(NEXT) | instid1(SALU_CYCLE_1)
	s_mul_hi_u32 s2, s14, s2
	s_mul_i32 s2, s2, s12
	s_delay_alu instid0(SALU_CYCLE_1) | instskip(NEXT) | instid1(SALU_CYCLE_1)
	s_sub_co_i32 s2, s14, s2
	s_sub_co_i32 s3, s2, s12
	s_cmp_ge_u32 s2, s12
	s_cselect_b32 s2, s3, s2
	s_mov_b32 s3, 0
	s_sub_co_i32 s13, s2, s12
	s_cmp_ge_u32 s2, s12
	s_cselect_b32 s2, s13, s2
.LBB0_16:
	s_add_co_i32 s12, s19, s18
	s_sub_co_i32 s14, s30, s18
	s_sub_co_i32 s12, s23, s12
	s_ashr_i32 s15, s14, 31
	s_ashr_i32 s13, s12, 31
	s_delay_alu instid0(SALU_CYCLE_1) | instskip(NEXT) | instid1(SALU_CYCLE_1)
	s_add_nc_u64 s[14:15], s[14:15], s[12:13]
	s_or_b64 s[16:17], s[14:15], s[12:13]
	s_delay_alu instid0(SALU_CYCLE_1) | instskip(NEXT) | instid1(SALU_CYCLE_1)
	s_and_b64 s[16:17], s[16:17], 0xffffffff00000000
	s_cmp_lg_u64 s[16:17], 0
	s_cbranch_scc0 .LBB0_26
; %bb.17:
	s_ashr_i32 s16, s13, 31
	s_delay_alu instid0(SALU_CYCLE_1) | instskip(NEXT) | instid1(SALU_CYCLE_1)
	s_mov_b32 s17, s16
	s_add_nc_u64 s[18:19], s[12:13], s[16:17]
	s_delay_alu instid0(SALU_CYCLE_1) | instskip(SKIP_4) | instid1(SALU_CYCLE_2)
	s_xor_b64 s[16:17], s[18:19], s[16:17]
	s_mov_b32 s19, 0
	s_cvt_f32_u32 s13, s16
	s_cvt_f32_u32 s18, s17
	s_sub_nc_u64 s[30:31], 0, s[16:17]
	s_fmamk_f32 s13, s18, 0x4f800000, s13
	s_delay_alu instid0(SALU_CYCLE_3) | instskip(NEXT) | instid1(TRANS32_DEP_1)
	v_s_rcp_f32 s13, s13
	s_mul_f32 s13, s13, 0x5f7ffffc
	s_delay_alu instid0(SALU_CYCLE_3) | instskip(NEXT) | instid1(SALU_CYCLE_3)
	s_mul_f32 s18, s13, 0x2f800000
	s_trunc_f32 s18, s18
	s_delay_alu instid0(SALU_CYCLE_3) | instskip(SKIP_1) | instid1(SALU_CYCLE_2)
	s_fmamk_f32 s13, s18, 0xcf800000, s13
	s_cvt_u32_f32 s23, s18
	s_cvt_u32_f32 s22, s13
	s_delay_alu instid0(SALU_CYCLE_3) | instskip(NEXT) | instid1(SALU_CYCLE_1)
	s_mul_u64 s[34:35], s[30:31], s[22:23]
	s_mul_hi_u32 s37, s22, s35
	s_mul_i32 s36, s22, s35
	s_mul_hi_u32 s18, s22, s34
	s_mul_i32 s33, s23, s34
	s_add_nc_u64 s[36:37], s[18:19], s[36:37]
	s_mul_hi_u32 s13, s23, s34
	s_mul_hi_u32 s38, s23, s35
	s_add_co_u32 s18, s36, s33
	s_add_co_ci_u32 s18, s37, s13
	s_mul_i32 s34, s23, s35
	s_add_co_ci_u32 s35, s38, 0
	s_delay_alu instid0(SALU_CYCLE_1) | instskip(NEXT) | instid1(SALU_CYCLE_1)
	s_add_nc_u64 s[34:35], s[18:19], s[34:35]
	s_add_co_u32 s22, s22, s34
	s_cselect_b32 s13, -1, 0
	s_delay_alu instid0(SALU_CYCLE_1) | instskip(SKIP_1) | instid1(SALU_CYCLE_1)
	s_cmp_lg_u32 s13, 0
	s_add_co_ci_u32 s23, s23, s35
	s_mul_u64 s[30:31], s[30:31], s[22:23]
	s_delay_alu instid0(SALU_CYCLE_1)
	s_mul_hi_u32 s35, s22, s31
	s_mul_i32 s34, s22, s31
	s_mul_hi_u32 s18, s22, s30
	s_mul_i32 s33, s23, s30
	s_add_nc_u64 s[34:35], s[18:19], s[34:35]
	s_mul_hi_u32 s13, s23, s30
	s_mul_hi_u32 s36, s23, s31
	s_add_co_u32 s18, s34, s33
	s_add_co_ci_u32 s18, s35, s13
	s_mul_i32 s30, s23, s31
	s_add_co_ci_u32 s31, s36, 0
	s_delay_alu instid0(SALU_CYCLE_1) | instskip(NEXT) | instid1(SALU_CYCLE_1)
	s_add_nc_u64 s[30:31], s[18:19], s[30:31]
	s_add_co_u32 s13, s22, s30
	s_cselect_b32 s18, -1, 0
	s_delay_alu instid0(SALU_CYCLE_1) | instskip(SKIP_2) | instid1(SALU_CYCLE_1)
	s_cmp_lg_u32 s18, 0
	s_add_co_ci_u32 s33, s23, s31
	s_ashr_i32 s22, s15, 31
	s_mov_b32 s23, s22
	s_delay_alu instid0(SALU_CYCLE_1) | instskip(NEXT) | instid1(SALU_CYCLE_1)
	s_add_nc_u64 s[30:31], s[14:15], s[22:23]
	s_xor_b64 s[30:31], s[30:31], s[22:23]
	s_delay_alu instid0(SALU_CYCLE_1)
	s_mul_hi_u32 s35, s30, s33
	s_mul_i32 s34, s30, s33
	s_mul_hi_u32 s18, s30, s13
	s_mul_hi_u32 s37, s31, s13
	s_mul_i32 s13, s31, s13
	s_add_nc_u64 s[34:35], s[18:19], s[34:35]
	s_mul_hi_u32 s15, s31, s33
	s_add_co_u32 s13, s34, s13
	s_add_co_ci_u32 s18, s35, s37
	s_mul_i32 s36, s31, s33
	s_add_co_ci_u32 s37, s15, 0
	s_delay_alu instid0(SALU_CYCLE_1) | instskip(NEXT) | instid1(SALU_CYCLE_1)
	s_add_nc_u64 s[34:35], s[18:19], s[36:37]
	s_and_b64 s[36:37], s[34:35], 0xffffffff00000000
	s_delay_alu instid0(SALU_CYCLE_1) | instskip(NEXT) | instid1(SALU_CYCLE_1)
	s_or_b32 s36, s36, s34
	s_mul_u64 s[34:35], s[16:17], s[36:37]
	s_delay_alu instid0(SALU_CYCLE_1)
	s_sub_co_u32 s13, s30, s34
	s_cselect_b32 s15, -1, 0
	s_sub_co_i32 s18, s31, s35
	s_cmp_lg_u32 s15, 0
	s_sub_co_ci_u32 s18, s18, s17
	s_sub_co_u32 s30, s13, s16
	s_cselect_b32 s33, -1, 0
	s_delay_alu instid0(SALU_CYCLE_1) | instskip(SKIP_1) | instid1(SALU_CYCLE_1)
	s_cmp_lg_u32 s33, 0
	s_sub_co_ci_u32 s34, s18, 0
	s_cmp_ge_u32 s34, s17
	s_cselect_b32 s36, -1, 0
	s_cmp_ge_u32 s30, s16
	s_cselect_b32 s37, -1, 0
	s_cmp_eq_u32 s34, s17
	s_cselect_b32 s36, s37, s36
	s_cmp_lg_u32 s33, 0
	s_sub_co_ci_u32 s18, s18, s17
	s_sub_co_u32 s33, s30, s16
	s_cselect_b32 s37, -1, 0
	s_delay_alu instid0(SALU_CYCLE_1)
	s_cmp_lg_u32 s37, 0
	s_sub_co_ci_u32 s18, s18, 0
	s_cmp_lg_u32 s36, 0
	s_cselect_b32 s30, s33, s30
	s_cselect_b32 s18, s18, s34
	s_cmp_lg_u32 s15, 0
	s_sub_co_ci_u32 s15, s31, s35
	s_delay_alu instid0(SALU_CYCLE_1)
	s_cmp_ge_u32 s15, s17
	s_cselect_b32 s31, -1, 0
	s_cmp_ge_u32 s13, s16
	s_cselect_b32 s16, -1, 0
	s_cmp_eq_u32 s15, s17
	s_cselect_b32 s16, s16, s31
	s_delay_alu instid0(SALU_CYCLE_1) | instskip(SKIP_2) | instid1(SALU_CYCLE_1)
	s_cmp_lg_u32 s16, 0
	s_cselect_b32 s17, s18, s15
	s_cselect_b32 s16, s30, s13
	s_xor_b64 s[16:17], s[16:17], s[22:23]
	s_delay_alu instid0(SALU_CYCLE_1)
	s_sub_nc_u64 s[16:17], s[16:17], s[22:23]
	s_cbranch_execnz .LBB0_19
.LBB0_18:
	v_cvt_f32_u32_e32 v2, s12
	s_sub_co_i32 s15, 0, s12
	s_mov_b32 s17, 0
	s_delay_alu instid0(VALU_DEP_1) | instskip(SKIP_1) | instid1(TRANS32_DEP_1)
	v_rcp_iflag_f32_e32 v2, v2
	v_nop
	v_mul_f32_e32 v2, 0x4f7ffffe, v2
	s_delay_alu instid0(VALU_DEP_1) | instskip(NEXT) | instid1(VALU_DEP_1)
	v_cvt_u32_f32_e32 v2, v2
	v_readfirstlane_b32 s13, v2
	s_mul_i32 s15, s15, s13
	s_delay_alu instid0(SALU_CYCLE_1) | instskip(NEXT) | instid1(SALU_CYCLE_1)
	s_mul_hi_u32 s15, s13, s15
	s_add_co_i32 s13, s13, s15
	s_delay_alu instid0(SALU_CYCLE_1) | instskip(NEXT) | instid1(SALU_CYCLE_1)
	s_mul_hi_u32 s13, s14, s13
	s_mul_i32 s13, s13, s12
	s_delay_alu instid0(SALU_CYCLE_1) | instskip(NEXT) | instid1(SALU_CYCLE_1)
	s_sub_co_i32 s13, s14, s13
	s_sub_co_i32 s14, s13, s12
	s_cmp_ge_u32 s13, s12
	s_cselect_b32 s13, s14, s13
	s_delay_alu instid0(SALU_CYCLE_1)
	s_sub_co_i32 s14, s13, s12
	s_cmp_ge_u32 s13, s12
	s_cselect_b32 s16, s14, s13
.LBB0_19:
	v_mul_u64_e32 v[0:1], s[6:7], v[0:1]
	s_mul_u64 s[6:7], s[16:17], s[24:25]
	s_mul_u64 s[2:3], s[2:3], s[10:11]
	;; [unrolled: 1-line block ×3, first 2 shown]
	v_mov_b64_e32 v[6:7], s[6:7]
	v_mov_b64_e32 v[4:5], s[2:3]
	;; [unrolled: 1-line block ×3, first 2 shown]
	s_mov_b32 s2, -1
.LBB0_20:
	v_mov_b32_e32 v9, 0
	s_and_saveexec_b32 s0, s2
	s_cbranch_execz .LBB0_22
; %bb.21:
	v_lshlrev_b64_e32 v[6:7], 2, v[6:7]
	v_lshlrev_b64_e32 v[4:5], 2, v[4:5]
	;; [unrolled: 1-line block ×3, first 2 shown]
	s_delay_alu instid0(VALU_DEP_3) | instskip(NEXT) | instid1(VALU_DEP_1)
	v_add_nc_u64_e32 v[6:7], s[4:5], v[6:7]
	v_add_nc_u64_e32 v[4:5], v[6:7], v[4:5]
	s_delay_alu instid0(VALU_DEP_1) | instskip(NEXT) | instid1(VALU_DEP_1)
	v_add_nc_u64_e32 v[2:3], v[4:5], v[2:3]
	v_lshl_add_u64 v[0:1], v[0:1], 2, v[2:3]
	global_load_b32 v9, v[0:1], off
.LBB0_22:
	s_wait_xcnt 0x0
	s_or_b32 exec_lo, exec_lo, s0
	s_mul_i32 s0, s29, s21
	s_delay_alu instid0(SALU_CYCLE_1) | instskip(NEXT) | instid1(SALU_CYCLE_1)
	s_add_co_i32 s0, s0, s28
	v_mad_u32 v0, s0, s20, v8
	s_wait_loadcnt 0x0
	global_store_b32 v0, v9, s[26:27] scale_offset
.LBB0_23:
	s_endpgm
.LBB0_24:
                                        ; implicit-def: $sgpr0_sgpr1
	s_branch .LBB0_12
.LBB0_25:
                                        ; implicit-def: $sgpr2_sgpr3
	s_branch .LBB0_15
.LBB0_26:
                                        ; implicit-def: $sgpr16_sgpr17
	s_branch .LBB0_18
	.section	.rodata,"a",@progbits
	.p2align	6, 0x0
	.amdhsa_kernel _ZL7pad_f32PKfmmmmPfiiiiiiiiiiiib
		.amdhsa_group_segment_fixed_size 0
		.amdhsa_private_segment_fixed_size 0
		.amdhsa_kernarg_size 360
		.amdhsa_user_sgpr_count 2
		.amdhsa_user_sgpr_dispatch_ptr 0
		.amdhsa_user_sgpr_queue_ptr 0
		.amdhsa_user_sgpr_kernarg_segment_ptr 1
		.amdhsa_user_sgpr_dispatch_id 0
		.amdhsa_user_sgpr_kernarg_preload_length 0
		.amdhsa_user_sgpr_kernarg_preload_offset 0
		.amdhsa_user_sgpr_private_segment_size 0
		.amdhsa_wavefront_size32 1
		.amdhsa_uses_dynamic_stack 0
		.amdhsa_enable_private_segment 0
		.amdhsa_system_sgpr_workgroup_id_x 1
		.amdhsa_system_sgpr_workgroup_id_y 1
		.amdhsa_system_sgpr_workgroup_id_z 1
		.amdhsa_system_sgpr_workgroup_info 0
		.amdhsa_system_vgpr_workitem_id 0
		.amdhsa_next_free_vgpr 18
		.amdhsa_next_free_sgpr 44
		.amdhsa_named_barrier_count 0
		.amdhsa_reserve_vcc 1
		.amdhsa_float_round_mode_32 0
		.amdhsa_float_round_mode_16_64 0
		.amdhsa_float_denorm_mode_32 3
		.amdhsa_float_denorm_mode_16_64 3
		.amdhsa_fp16_overflow 0
		.amdhsa_memory_ordered 1
		.amdhsa_forward_progress 1
		.amdhsa_inst_pref_size 29
		.amdhsa_round_robin_scheduling 0
		.amdhsa_exception_fp_ieee_invalid_op 0
		.amdhsa_exception_fp_denorm_src 0
		.amdhsa_exception_fp_ieee_div_zero 0
		.amdhsa_exception_fp_ieee_overflow 0
		.amdhsa_exception_fp_ieee_underflow 0
		.amdhsa_exception_fp_ieee_inexact 0
		.amdhsa_exception_int_div_zero 0
	.end_amdhsa_kernel
	.section	.text._ZL7pad_f32PKfmmmmPfiiiiiiiiiiiib,"axG",@progbits,_ZL7pad_f32PKfmmmmPfiiiiiiiiiiiib,comdat
.Lfunc_end0:
	.size	_ZL7pad_f32PKfmmmmPfiiiiiiiiiiiib, .Lfunc_end0-_ZL7pad_f32PKfmmmmPfiiiiiiiiiiiib
                                        ; -- End function
	.set _ZL7pad_f32PKfmmmmPfiiiiiiiiiiiib.num_vgpr, 18
	.set _ZL7pad_f32PKfmmmmPfiiiiiiiiiiiib.num_agpr, 0
	.set _ZL7pad_f32PKfmmmmPfiiiiiiiiiiiib.numbered_sgpr, 44
	.set _ZL7pad_f32PKfmmmmPfiiiiiiiiiiiib.num_named_barrier, 0
	.set _ZL7pad_f32PKfmmmmPfiiiiiiiiiiiib.private_seg_size, 0
	.set _ZL7pad_f32PKfmmmmPfiiiiiiiiiiiib.uses_vcc, 1
	.set _ZL7pad_f32PKfmmmmPfiiiiiiiiiiiib.uses_flat_scratch, 0
	.set _ZL7pad_f32PKfmmmmPfiiiiiiiiiiiib.has_dyn_sized_stack, 0
	.set _ZL7pad_f32PKfmmmmPfiiiiiiiiiiiib.has_recursion, 0
	.set _ZL7pad_f32PKfmmmmPfiiiiiiiiiiiib.has_indirect_call, 0
	.section	.AMDGPU.csdata,"",@progbits
; Kernel info:
; codeLenInByte = 3668
; TotalNumSgprs: 46
; NumVgprs: 18
; ScratchSize: 0
; MemoryBound: 0
; FloatMode: 240
; IeeeMode: 1
; LDSByteSize: 0 bytes/workgroup (compile time only)
; SGPRBlocks: 0
; VGPRBlocks: 1
; NumSGPRsForWavesPerEU: 46
; NumVGPRsForWavesPerEU: 18
; NamedBarCnt: 0
; Occupancy: 16
; WaveLimiterHint : 0
; COMPUTE_PGM_RSRC2:SCRATCH_EN: 0
; COMPUTE_PGM_RSRC2:USER_SGPR: 2
; COMPUTE_PGM_RSRC2:TRAP_HANDLER: 0
; COMPUTE_PGM_RSRC2:TGID_X_EN: 1
; COMPUTE_PGM_RSRC2:TGID_Y_EN: 1
; COMPUTE_PGM_RSRC2:TGID_Z_EN: 1
; COMPUTE_PGM_RSRC2:TIDIG_COMP_CNT: 0
	.section	.AMDGPU.gpr_maximums,"",@progbits
	.set amdgpu.max_num_vgpr, 0
	.set amdgpu.max_num_agpr, 0
	.set amdgpu.max_num_sgpr, 0
	.section	.AMDGPU.csdata,"",@progbits
	.type	__hip_cuid_37caaff16fb214b2,@object ; @__hip_cuid_37caaff16fb214b2
	.section	.bss,"aw",@nobits
	.globl	__hip_cuid_37caaff16fb214b2
__hip_cuid_37caaff16fb214b2:
	.byte	0                               ; 0x0
	.size	__hip_cuid_37caaff16fb214b2, 1

	.ident	"AMD clang version 22.0.0git (https://github.com/RadeonOpenCompute/llvm-project roc-7.2.4 26084 f58b06dce1f9c15707c5f808fd002e18c2accf7e)"
	.section	".note.GNU-stack","",@progbits
	.addrsig
	.addrsig_sym __hip_cuid_37caaff16fb214b2
	.amdgpu_metadata
---
amdhsa.kernels:
  - .args:
      - .address_space:  global
        .offset:         0
        .size:           8
        .value_kind:     global_buffer
      - .offset:         8
        .size:           8
        .value_kind:     by_value
      - .offset:         16
        .size:           8
        .value_kind:     by_value
      - .offset:         24
        .size:           8
        .value_kind:     by_value
      - .offset:         32
        .size:           8
        .value_kind:     by_value
      - .address_space:  global
        .offset:         40
        .size:           8
        .value_kind:     global_buffer
      - .offset:         48
        .size:           4
        .value_kind:     by_value
      - .offset:         52
        .size:           4
        .value_kind:     by_value
      - .offset:         56
        .size:           4
        .value_kind:     by_value
      - .offset:         60
        .size:           4
        .value_kind:     by_value
      - .offset:         64
        .size:           4
        .value_kind:     by_value
      - .offset:         68
        .size:           4
        .value_kind:     by_value
      - .offset:         72
        .size:           4
        .value_kind:     by_value
      - .offset:         76
        .size:           4
        .value_kind:     by_value
      - .offset:         80
        .size:           4
        .value_kind:     by_value
      - .offset:         84
        .size:           4
        .value_kind:     by_value
      - .offset:         88
        .size:           4
        .value_kind:     by_value
      - .offset:         92
        .size:           4
        .value_kind:     by_value
      - .offset:         96
        .size:           1
        .value_kind:     by_value
      - .offset:         104
        .size:           4
        .value_kind:     hidden_block_count_x
      - .offset:         108
        .size:           4
        .value_kind:     hidden_block_count_y
      - .offset:         112
        .size:           4
        .value_kind:     hidden_block_count_z
      - .offset:         116
        .size:           2
        .value_kind:     hidden_group_size_x
      - .offset:         118
        .size:           2
        .value_kind:     hidden_group_size_y
      - .offset:         120
        .size:           2
        .value_kind:     hidden_group_size_z
      - .offset:         122
        .size:           2
        .value_kind:     hidden_remainder_x
      - .offset:         124
        .size:           2
        .value_kind:     hidden_remainder_y
      - .offset:         126
        .size:           2
        .value_kind:     hidden_remainder_z
      - .offset:         144
        .size:           8
        .value_kind:     hidden_global_offset_x
      - .offset:         152
        .size:           8
        .value_kind:     hidden_global_offset_y
      - .offset:         160
        .size:           8
        .value_kind:     hidden_global_offset_z
      - .offset:         168
        .size:           2
        .value_kind:     hidden_grid_dims
    .group_segment_fixed_size: 0
    .kernarg_segment_align: 8
    .kernarg_segment_size: 360
    .language:       OpenCL C
    .language_version:
      - 2
      - 0
    .max_flat_workgroup_size: 1024
    .name:           _ZL7pad_f32PKfmmmmPfiiiiiiiiiiiib
    .private_segment_fixed_size: 0
    .sgpr_count:     46
    .sgpr_spill_count: 0
    .symbol:         _ZL7pad_f32PKfmmmmPfiiiiiiiiiiiib.kd
    .uniform_work_group_size: 1
    .uses_dynamic_stack: false
    .vgpr_count:     18
    .vgpr_spill_count: 0
    .wavefront_size: 32
amdhsa.target:   amdgcn-amd-amdhsa--gfx1250
amdhsa.version:
  - 1
  - 2
...

	.end_amdgpu_metadata
